;; amdgpu-corpus repo=ROCm/rocFFT kind=compiled arch=gfx1201 opt=O3
	.text
	.amdgcn_target "amdgcn-amd-amdhsa--gfx1201"
	.amdhsa_code_object_version 6
	.protected	fft_rtc_fwd_len192_factors_6_4_4_2_wgs_256_tpt_32_dp_op_CI_CI_sbrc_xy_z_unaligned_dirReg ; -- Begin function fft_rtc_fwd_len192_factors_6_4_4_2_wgs_256_tpt_32_dp_op_CI_CI_sbrc_xy_z_unaligned_dirReg
	.globl	fft_rtc_fwd_len192_factors_6_4_4_2_wgs_256_tpt_32_dp_op_CI_CI_sbrc_xy_z_unaligned_dirReg
	.p2align	8
	.type	fft_rtc_fwd_len192_factors_6_4_4_2_wgs_256_tpt_32_dp_op_CI_CI_sbrc_xy_z_unaligned_dirReg,@function
fft_rtc_fwd_len192_factors_6_4_4_2_wgs_256_tpt_32_dp_op_CI_CI_sbrc_xy_z_unaligned_dirReg: ; @fft_rtc_fwd_len192_factors_6_4_4_2_wgs_256_tpt_32_dp_op_CI_CI_sbrc_xy_z_unaligned_dirReg
; %bb.0:
	s_load_b128 s[4:7], s[0:1], 0x10
	s_mov_b32 s2, ttmp9
	s_mov_b64 s[20:21], 0
	s_wait_kmcnt 0x0
	s_load_b128 s[8:11], s[4:5], 0x8
	s_clause 0x1
	s_load_b128 s[12:15], s[6:7], 0x0
	s_load_b64 s[22:23], s[6:7], 0x10
	s_wait_kmcnt 0x0
	s_add_co_i32 s3, s10, -1
	s_delay_alu instid0(SALU_CYCLE_1) | instskip(NEXT) | instid1(SALU_CYCLE_1)
	s_lshr_b32 s3, s3, 3
	s_add_co_i32 s3, s3, 1
	s_delay_alu instid0(SALU_CYCLE_1) | instskip(NEXT) | instid1(SALU_CYCLE_1)
	s_mul_i32 s4, s3, s8
	s_cvt_f32_u32 s3, s4
	s_sub_co_i32 s5, 0, s4
	s_delay_alu instid0(SALU_CYCLE_2) | instskip(NEXT) | instid1(TRANS32_DEP_1)
	v_rcp_iflag_f32_e32 v1, s3
	v_readfirstlane_b32 s3, v1
	v_cvt_f32_u32_e32 v1, s8
	s_delay_alu instid0(VALU_DEP_2) | instskip(SKIP_1) | instid1(SALU_CYCLE_2)
	s_mul_f32 s3, s3, 0x4f7ffffe
	s_wait_alu 0xfffe
	s_cvt_u32_f32 s3, s3
	s_wait_alu 0xfffe
	s_delay_alu instid0(SALU_CYCLE_2) | instskip(NEXT) | instid1(SALU_CYCLE_1)
	s_mul_i32 s5, s5, s3
	s_mul_hi_u32 s5, s3, s5
	s_delay_alu instid0(SALU_CYCLE_1)
	s_add_co_i32 s3, s3, s5
	s_wait_alu 0xfffe
	s_mul_hi_u32 s3, ttmp9, s3
	s_wait_alu 0xfffe
	s_mul_i32 s5, s3, s4
	s_add_co_i32 s11, s3, 1
	s_sub_co_i32 s5, ttmp9, s5
	s_delay_alu instid0(SALU_CYCLE_1)
	s_sub_co_i32 s15, s5, s4
	s_cmp_ge_u32 s5, s4
	s_cselect_b32 s3, s11, s3
	s_cselect_b32 s5, s15, s5
	s_wait_alu 0xfffe
	s_add_co_i32 s11, s3, 1
	s_cmp_ge_u32 s5, s4
	s_cselect_b32 s16, s11, s3
	s_mov_b32 s3, 0
	s_mul_i32 s4, s16, s4
	s_wait_alu 0xfffe
	s_mov_b32 s5, s3
	s_sub_co_i32 s4, ttmp9, s4
	s_delay_alu instid0(SALU_CYCLE_1) | instskip(NEXT) | instid1(VALU_DEP_1)
	v_cmp_lt_u64_e64 s5, s[4:5], s[8:9]
	s_and_b32 vcc_lo, exec_lo, s5
	s_cbranch_vccnz .LBB0_2
; %bb.1:
	v_rcp_iflag_f32_e32 v2, v1
	s_sub_co_i32 s11, 0, s8
	s_delay_alu instid0(TRANS32_DEP_1) | instskip(NEXT) | instid1(VALU_DEP_1)
	v_mul_f32_e32 v2, 0x4f7ffffe, v2
	v_cvt_u32_f32_e32 v2, v2
	s_delay_alu instid0(VALU_DEP_1) | instskip(NEXT) | instid1(VALU_DEP_1)
	v_readfirstlane_b32 s5, v2
	s_mul_i32 s11, s11, s5
	s_delay_alu instid0(SALU_CYCLE_1) | instskip(NEXT) | instid1(SALU_CYCLE_1)
	s_mul_hi_u32 s11, s5, s11
	s_add_co_i32 s5, s5, s11
	s_wait_alu 0xfffe
	s_mul_hi_u32 s5, s4, s5
	s_wait_alu 0xfffe
	s_mul_i32 s11, s5, s8
	s_delay_alu instid0(SALU_CYCLE_1)
	s_sub_co_i32 s4, s4, s11
	s_add_co_i32 s11, s5, 1
	s_wait_alu 0xfffe
	s_sub_co_i32 s15, s4, s8
	s_cmp_ge_u32 s4, s8
	s_cselect_b32 s5, s11, s5
	s_cselect_b32 s4, s15, s4
	s_wait_alu 0xfffe
	s_add_co_i32 s11, s5, 1
	s_cmp_ge_u32 s4, s8
	s_cselect_b32 s20, s11, s5
.LBB0_2:
	s_load_b64 s[18:19], s[0:1], 0x20
	v_cmp_lt_u64_e64 s3, s[2:3], s[8:9]
	s_delay_alu instid0(VALU_DEP_1)
	s_and_b32 vcc_lo, exec_lo, s3
	s_cbranch_vccnz .LBB0_4
; %bb.3:
	v_rcp_iflag_f32_e32 v1, v1
	s_sub_co_i32 s4, 0, s8
	s_delay_alu instid0(TRANS32_DEP_1) | instskip(NEXT) | instid1(VALU_DEP_1)
	v_mul_f32_e32 v1, 0x4f7ffffe, v1
	v_cvt_u32_f32_e32 v1, v1
	s_delay_alu instid0(VALU_DEP_1) | instskip(SKIP_1) | instid1(VALU_DEP_1)
	v_readfirstlane_b32 s3, v1
	s_wait_alu 0xfffe
	s_mul_i32 s4, s4, s3
	s_wait_alu 0xfffe
	s_mul_hi_u32 s4, s3, s4
	s_wait_alu 0xfffe
	s_add_co_i32 s3, s3, s4
	s_wait_alu 0xfffe
	s_mul_hi_u32 s3, s2, s3
	s_wait_alu 0xfffe
	s_mul_i32 s3, s3, s8
	s_wait_alu 0xfffe
	s_sub_co_i32 s2, s2, s3
	s_wait_alu 0xfffe
	s_sub_co_i32 s3, s2, s8
	s_cmp_ge_u32 s2, s8
	s_wait_alu 0xfffe
	s_cselect_b32 s2, s3, s2
	s_wait_alu 0xfffe
	s_sub_co_i32 s3, s2, s8
	s_cmp_ge_u32 s2, s8
	s_wait_alu 0xfffe
	s_cselect_b32 s2, s3, s2
.LBB0_4:
	s_load_b64 s[4:5], s[0:1], 0x8
	s_mul_i32 s3, s2, s14
	s_lshl_b32 s14, s20, 3
	s_mov_b32 s17, 0
	s_mul_i32 s11, s14, s22
	s_add_co_i32 s15, s14, 8
	s_wait_alu 0xfffe
	s_add_co_i32 s20, s3, s11
	s_mov_b32 s21, s17
	s_wait_kmcnt 0x0
	s_lshl_b64 s[4:5], s[4:5], 3
	s_cmp_le_u32 s15, s10
	s_wait_alu 0xfffe
	s_add_nc_u64 s[6:7], s[6:7], s[4:5]
	s_add_nc_u64 s[8:9], s[18:19], s[4:5]
	s_load_b64 s[26:27], s[6:7], 0x0
	s_load_b64 s[24:25], s[0:1], 0x58
	s_clause 0x2
	s_load_b128 s[4:7], s[18:19], 0x0
	s_load_b64 s[18:19], s[18:19], 0x10
	s_load_b64 s[8:9], s[8:9], 0x0
	s_cselect_b32 s3, -1, 0
	s_wait_kmcnt 0x0
	s_mov_b32 s7, -1
	s_wait_alu 0xfffe
	s_and_b32 vcc_lo, exec_lo, s3
	s_mul_u64 s[26:27], s[26:27], s[16:17]
	s_delay_alu instid0(SALU_CYCLE_1)
	s_add_nc_u64 s[26:27], s[26:27], s[20:21]
	s_cbranch_vccnz .LBB0_8
; %bb.5:
	v_dual_mov_b32 v2, 0 :: v_dual_mov_b32 v3, v0
	s_lshl_b64 s[20:21], s[26:27], 4
	s_mov_b32 s7, s17
	s_add_nc_u64 s[20:21], s[24:25], s[20:21]
.LBB0_6:                                ; =>This Inner Loop Header: Depth=1
	s_delay_alu instid0(VALU_DEP_1) | instskip(NEXT) | instid1(VALU_DEP_1)
	v_and_b32_e32 v1, 0xffff, v3
	v_mul_u32_u24_e32 v1, 0xaaab, v1
	s_delay_alu instid0(VALU_DEP_1) | instskip(NEXT) | instid1(VALU_DEP_1)
	v_lshrrev_b32_e32 v8, 23, v1
	v_mul_lo_u16 v1, 0xc0, v8
	s_delay_alu instid0(VALU_DEP_1) | instskip(SKIP_1) | instid1(VALU_DEP_2)
	v_sub_nc_u16 v9, v3, v1
	v_add_nc_u32_e32 v3, 0x100, v3
	v_and_b32_e32 v6, 0xffff, v9
	s_delay_alu instid0(VALU_DEP_1) | instskip(NEXT) | instid1(VALU_DEP_1)
	v_mad_co_u64_u32 v[4:5], null, s12, v6, 0
	v_mov_b32_e32 v1, v5
	s_delay_alu instid0(VALU_DEP_1) | instskip(SKIP_1) | instid1(VALU_DEP_2)
	v_mad_co_u64_u32 v[5:6], null, s13, v6, v[1:2]
	v_mul_lo_u32 v1, s22, v8
	v_lshlrev_b64_e32 v[4:5], 4, v[4:5]
	s_delay_alu instid0(VALU_DEP_2) | instskip(NEXT) | instid1(VALU_DEP_2)
	v_lshlrev_b64_e32 v[6:7], 4, v[1:2]
	v_add_co_u32 v1, vcc_lo, s20, v4
	s_wait_alu 0xfffd
	s_delay_alu instid0(VALU_DEP_3) | instskip(NEXT) | instid1(VALU_DEP_2)
	v_add_co_ci_u32_e32 v5, vcc_lo, s21, v5, vcc_lo
	v_add_co_u32 v4, vcc_lo, v1, v6
	s_wait_alu 0xfffd
	s_delay_alu instid0(VALU_DEP_2)
	v_add_co_ci_u32_e32 v5, vcc_lo, v5, v7, vcc_lo
	v_lshlrev_b16 v1, 3, v9
	v_cmp_lt_u32_e32 vcc_lo, 0x5ff, v3
	global_load_b128 v[4:7], v[4:5], off
	v_add_nc_u16 v1, v1, v8
	s_or_b32 s7, vcc_lo, s7
	s_delay_alu instid0(VALU_DEP_1) | instskip(NEXT) | instid1(VALU_DEP_1)
	v_and_b32_e32 v1, 0xffff, v1
	v_lshl_add_u32 v1, v1, 4, 0
	s_wait_loadcnt 0x0
	ds_store_b128 v1, v[4:7]
	s_and_not1_b32 exec_lo, exec_lo, s7
	s_cbranch_execnz .LBB0_6
; %bb.7:
	s_or_b32 exec_lo, exec_lo, s7
	s_mov_b32 s7, 0
.LBB0_8:
	s_load_b64 s[20:21], s[0:1], 0x0
	s_and_b32 vcc_lo, exec_lo, s7
	s_wait_alu 0xfffe
	s_cbranch_vccz .LBB0_10
; %bb.9:
	v_mul_u32_u24_e32 v1, 0x156, v0
	v_or_b32_e32 v5, 0x100, v0
	v_mov_b32_e32 v2, 0
	v_or_b32_e32 v6, 0x200, v0
	v_or_b32_e32 v12, 0x300, v0
	v_lshrrev_b32_e32 v25, 16, v1
	v_and_b32_e32 v1, 0xffff, v5
	v_or_b32_e32 v15, 0x500, v0
	v_and_b32_e32 v4, 0xffff, v6
	v_and_b32_e32 v7, 0xffff, v12
	v_mul_lo_u16 v3, 0xc0, v25
	v_mul_u32_u24_e32 v1, 0x156, v1
	v_or_b32_e32 v14, 0x400, v0
	s_lshl_b64 s[26:27], s[26:27], 4
	v_mul_u32_u24_e32 v11, 0x2ab, v7
	v_sub_nc_u16 v26, v0, v3
	v_lshrrev_b32_e32 v27, 16, v1
	v_mul_u32_u24_e32 v1, 0x2ab, v4
	v_and_b32_e32 v10, 0xffff, v14
	v_lshrrev_b32_e32 v31, 17, v11
	v_and_b32_e32 v8, 0xffff, v26
	v_mul_lo_u16 v9, 0xc0, v27
	v_lshrrev_b32_e32 v28, 17, v1
	v_mul_lo_u32 v1, s22, v25
	v_mul_u32_u24_e32 v10, 0x2ab, v10
	v_mad_co_u64_u32 v[3:4], null, s12, v8, 0
	v_sub_nc_u16 v29, v5, v9
	v_mul_lo_u16 v5, 0xc0, v28
	v_mul_lo_u16 v18, 0xc0, v31
	s_add_nc_u64 s[24:25], s[24:25], s[26:27]
	v_lshrrev_b32_e32 v32, 17, v10
	v_and_b32_e32 v13, 0xffff, v29
	v_sub_nc_u16 v30, v6, v5
	v_lshlrev_b64_e32 v[10:11], 4, v[1:2]
	v_sub_nc_u16 v33, v12, v18
	v_mul_lo_u32 v1, s22, v27
	v_mad_co_u64_u32 v[5:6], null, s12, v13, 0
	v_and_b32_e32 v16, 0xffff, v30
	v_lshlrev_b16 v26, 3, v26
	s_delay_alu instid0(VALU_DEP_1) | instskip(NEXT) | instid1(VALU_DEP_4)
	v_or_b32_e32 v25, v26, v25
	v_mad_co_u64_u32 v[7:8], null, s13, v8, v[4:5]
	v_and_b32_e32 v9, 0xffff, v15
	v_lshlrev_b16 v26, 3, v29
	v_lshlrev_b16 v29, 3, v30
	;; [unrolled: 1-line block ×3, first 2 shown]
	v_dual_mov_b32 v4, v7 :: v_dual_and_b32 v25, 0xffff, v25
	v_mul_u32_u24_e32 v17, 0x2ab, v9
	v_mad_co_u64_u32 v[8:9], null, s12, v16, 0
	v_mad_co_u64_u32 v[6:7], null, s13, v13, v[6:7]
	s_delay_alu instid0(VALU_DEP_4) | instskip(NEXT) | instid1(VALU_DEP_4)
	v_lshlrev_b64_e32 v[3:4], 4, v[3:4]
	v_lshrrev_b32_e32 v34, 17, v17
	v_or_b32_e32 v26, v26, v27
	v_or_b32_e32 v27, v29, v28
	v_mov_b32_e32 v7, v9
	v_lshl_add_u32 v25, v25, 4, 0
	s_delay_alu instid0(VALU_DEP_4) | instskip(NEXT) | instid1(VALU_DEP_4)
	v_and_b32_e32 v26, 0xffff, v26
	v_and_b32_e32 v27, 0xffff, v27
	s_delay_alu instid0(VALU_DEP_4) | instskip(SKIP_4) | instid1(VALU_DEP_3)
	v_mad_co_u64_u32 v[12:13], null, s13, v16, v[7:8]
	v_add_co_u32 v7, vcc_lo, s24, v3
	s_wait_alu 0xfffd
	v_add_co_ci_u32_e32 v9, vcc_lo, s25, v4, vcc_lo
	v_lshlrev_b64_e32 v[3:4], 4, v[5:6]
	v_add_co_u32 v5, vcc_lo, v7, v10
	s_wait_alu 0xfffd
	s_delay_alu instid0(VALU_DEP_3) | instskip(SKIP_1) | instid1(VALU_DEP_4)
	v_add_co_ci_u32_e32 v6, vcc_lo, v9, v11, vcc_lo
	v_and_b32_e32 v16, 0xffff, v33
	v_add_co_u32 v7, vcc_lo, s24, v3
	s_wait_alu 0xfffd
	v_add_co_ci_u32_e32 v13, vcc_lo, s25, v4, vcc_lo
	v_lshlrev_b64_e32 v[3:4], 4, v[1:2]
	v_mul_lo_u16 v1, 0xc0, v32
	v_mov_b32_e32 v9, v12
	v_mad_co_u64_u32 v[10:11], null, s12, v16, 0
	v_lshl_add_u32 v27, v27, 4, 0
	s_delay_alu instid0(VALU_DEP_4)
	v_sub_nc_u16 v35, v14, v1
	v_mul_lo_u16 v1, 0xc0, v34
	v_add_co_u32 v12, vcc_lo, v7, v3
	s_wait_alu 0xfffd
	v_add_co_ci_u32_e32 v13, vcc_lo, v13, v4, vcc_lo
	v_and_b32_e32 v19, 0xffff, v35
	v_sub_nc_u16 v36, v15, v1
	v_lshlrev_b64_e32 v[3:4], 4, v[8:9]
	v_mov_b32_e32 v7, v11
	v_mul_lo_u32 v1, s22, v28
	v_mad_co_u64_u32 v[8:9], null, s12, v19, 0
	v_and_b32_e32 v21, 0xffff, v36
	v_lshlrev_b16 v33, 3, v35
	v_lshlrev_b16 v35, 3, v36
	v_or_b32_e32 v28, v30, v31
	v_lshl_add_u32 v26, v26, 4, 0
	v_lshlrev_b64_e32 v[17:18], 4, v[1:2]
	v_mad_co_u64_u32 v[14:15], null, s13, v16, v[7:8]
	v_mad_co_u64_u32 v[15:16], null, s12, v21, 0
	v_add_co_u32 v7, vcc_lo, s24, v3
	v_mov_b32_e32 v3, v9
	s_wait_alu 0xfffd
	v_add_co_ci_u32_e32 v20, vcc_lo, s25, v4, vcc_lo
	v_mov_b32_e32 v11, v14
	v_mul_lo_u32 v1, s22, v31
	v_mad_co_u64_u32 v[3:4], null, s13, v19, v[3:4]
	v_mov_b32_e32 v4, v16
	s_delay_alu instid0(VALU_DEP_4)
	v_lshlrev_b64_e32 v[10:11], 4, v[10:11]
	v_add_co_u32 v17, vcc_lo, v7, v17
	s_wait_alu 0xfffd
	v_add_co_ci_u32_e32 v18, vcc_lo, v20, v18, vcc_lo
	v_mad_co_u64_u32 v[21:22], null, s13, v21, v[4:5]
	v_lshlrev_b64_e32 v[19:20], 4, v[1:2]
	v_mul_lo_u32 v1, s22, v32
	v_mov_b32_e32 v9, v3
	v_add_co_u32 v7, vcc_lo, s24, v10
	s_wait_alu 0xfffd
	v_add_co_ci_u32_e32 v10, vcc_lo, s25, v11, vcc_lo
	v_mov_b32_e32 v16, v21
	v_lshlrev_b64_e32 v[3:4], 4, v[8:9]
	v_add_co_u32 v19, vcc_lo, v7, v19
	v_lshlrev_b64_e32 v[7:8], 4, v[1:2]
	v_mul_lo_u32 v1, s22, v34
	s_wait_alu 0xfffd
	v_add_co_ci_u32_e32 v20, vcc_lo, v10, v20, vcc_lo
	v_lshlrev_b64_e32 v[9:10], 4, v[15:16]
	v_add_co_u32 v3, vcc_lo, s24, v3
	s_wait_alu 0xfffd
	v_add_co_ci_u32_e32 v4, vcc_lo, s25, v4, vcc_lo
	v_lshlrev_b64_e32 v[1:2], 4, v[1:2]
	s_delay_alu instid0(VALU_DEP_4)
	v_add_co_u32 v9, vcc_lo, s24, v9
	s_wait_alu 0xfffd
	v_add_co_ci_u32_e32 v10, vcc_lo, s25, v10, vcc_lo
	v_add_co_u32 v21, vcc_lo, v3, v7
	s_wait_alu 0xfffd
	v_add_co_ci_u32_e32 v22, vcc_lo, v4, v8, vcc_lo
	;; [unrolled: 3-line block ×3, first 2 shown]
	s_clause 0x5
	global_load_b128 v[1:4], v[5:6], off
	global_load_b128 v[5:8], v[12:13], off
	;; [unrolled: 1-line block ×6, first 2 shown]
	v_or_b32_e32 v29, v33, v32
	v_or_b32_e32 v30, v35, v34
	v_and_b32_e32 v28, 0xffff, v28
	s_delay_alu instid0(VALU_DEP_3) | instskip(NEXT) | instid1(VALU_DEP_3)
	v_and_b32_e32 v29, 0xffff, v29
	v_and_b32_e32 v30, 0xffff, v30
	s_delay_alu instid0(VALU_DEP_3) | instskip(NEXT) | instid1(VALU_DEP_3)
	v_lshl_add_u32 v28, v28, 4, 0
	v_lshl_add_u32 v29, v29, 4, 0
	s_delay_alu instid0(VALU_DEP_3)
	v_lshl_add_u32 v30, v30, 4, 0
	s_wait_loadcnt 0x5
	ds_store_b128 v25, v[1:4]
	s_wait_loadcnt 0x4
	ds_store_b128 v26, v[5:8]
	;; [unrolled: 2-line block ×6, first 2 shown]
.LBB0_10:
	v_lshrrev_b32_e32 v34, 3, v0
	v_and_b32_e32 v33, 7, v0
	global_wb scope:SCOPE_SE
	s_wait_dscnt 0x0
	s_wait_kmcnt 0x0
	s_barrier_signal -1
	s_barrier_wait -1
	v_lshlrev_b32_e32 v1, 7, v34
	v_lshlrev_b32_e32 v36, 4, v33
	global_inv scope:SCOPE_SE
	s_mov_b32 s12, 0xe8584caa
	s_mov_b32 s13, 0x3febb67a
	;; [unrolled: 1-line block ×3, first 2 shown]
	v_add3_u32 v35, 0, v1, v36
	s_wait_alu 0xfffe
	s_mov_b32 s22, s12
	v_cmp_gt_u32_e32 vcc_lo, 0x80, v0
	ds_load_b128 v[1:4], v35 offset:12288
	ds_load_b128 v[5:8], v35 offset:20480
	;; [unrolled: 1-line block ×3, first 2 shown]
	s_wait_dscnt 0x1
	v_add_f64_e32 v[13:14], v[3:4], v[7:8]
	v_add_f64_e32 v[15:16], v[1:2], v[5:6]
	v_add_f64_e64 v[21:22], v[3:4], -v[7:8]
	v_add_f64_e64 v[23:24], v[1:2], -v[5:6]
	s_wait_dscnt 0x0
	v_add_f64_e32 v[1:2], v[9:10], v[1:2]
	v_add_f64_e32 v[3:4], v[11:12], v[3:4]
	v_fma_f64 v[25:26], v[13:14], -0.5, v[11:12]
	v_fma_f64 v[27:28], v[15:16], -0.5, v[9:10]
	ds_load_b128 v[13:16], v35 offset:8192
	ds_load_b128 v[17:20], v35 offset:16384
	v_add_f64_e32 v[1:2], v[1:2], v[5:6]
	v_add_f64_e32 v[3:4], v[3:4], v[7:8]
	s_wait_dscnt 0x0
	v_add_f64_e32 v[29:30], v[13:14], v[17:18]
	v_add_f64_e32 v[31:32], v[15:16], v[19:20]
	v_add_f64_e64 v[43:44], v[15:16], -v[19:20]
	v_add_f64_e64 v[11:12], v[13:14], -v[17:18]
	s_wait_alu 0xfffe
	v_fma_f64 v[37:38], v[23:24], s[22:23], v[25:26]
	v_fma_f64 v[39:40], v[21:22], s[22:23], v[27:28]
	;; [unrolled: 1-line block ×4, first 2 shown]
	ds_load_b128 v[21:24], v35
	global_wb scope:SCOPE_SE
	s_wait_dscnt 0x0
	s_barrier_signal -1
	s_barrier_wait -1
	global_inv scope:SCOPE_SE
	v_add_f64_e32 v[41:42], v[21:22], v[13:14]
	v_add_f64_e32 v[15:16], v[23:24], v[15:16]
	v_fma_f64 v[9:10], v[29:30], -0.5, v[21:22]
	v_fma_f64 v[13:14], v[31:32], -0.5, v[23:24]
	v_mul_f64_e32 v[21:22], s[12:13], v[37:38]
	v_mul_f64_e32 v[23:24], -0.5, v[39:40]
	v_mul_f64_e32 v[29:30], s[22:23], v[27:28]
	v_mul_f64_e32 v[31:32], -0.5, v[25:26]
	v_add_f64_e32 v[17:18], v[41:42], v[17:18]
	v_add_f64_e32 v[15:16], v[15:16], v[19:20]
	v_fma_f64 v[41:42], v[43:44], s[12:13], v[9:10]
	v_fma_f64 v[9:10], v[43:44], s[22:23], v[9:10]
	;; [unrolled: 1-line block ×4, first 2 shown]
	v_fma_f64 v[27:28], v[27:28], 0.5, v[21:22]
	v_fma_f64 v[25:26], v[25:26], s[12:13], v[23:24]
	v_fma_f64 v[29:30], v[37:38], 0.5, v[29:30]
	v_fma_f64 v[31:32], v[39:40], s[22:23], v[31:32]
	v_or_b32_e32 v37, 32, v34
	s_delay_alu instid0(VALU_DEP_1)
	v_lshlrev_b32_e32 v38, 7, v37
	v_add_f64_e32 v[5:6], v[17:18], v[1:2]
	v_add_f64_e32 v[7:8], v[15:16], v[3:4]
	v_add_f64_e64 v[13:14], v[17:18], -v[1:2]
	v_add_f64_e64 v[15:16], v[15:16], -v[3:4]
	v_add_f64_e32 v[17:18], v[41:42], v[27:28]
	v_add_f64_e32 v[21:22], v[9:10], v[25:26]
	;; [unrolled: 1-line block ×4, first 2 shown]
	v_add_f64_e64 v[1:2], v[41:42], -v[27:28]
	v_add_f64_e64 v[3:4], v[43:44], -v[29:30]
	;; [unrolled: 1-line block ×4, first 2 shown]
	v_mad_u32_u24 v25, 0x280, v34, v35
                                        ; implicit-def: $vgpr27_vgpr28
                                        ; implicit-def: $vgpr31_vgpr32
	ds_store_b128 v25, v[5:8]
	ds_store_b128 v25, v[17:20] offset:128
	ds_store_b128 v25, v[21:24] offset:256
	;; [unrolled: 1-line block ×5, first 2 shown]
	global_wb scope:SCOPE_SE
	s_wait_dscnt 0x0
	s_barrier_signal -1
	s_barrier_wait -1
	global_inv scope:SCOPE_SE
	ds_load_b128 v[5:8], v35
	ds_load_b128 v[21:24], v35 offset:6144
	ds_load_b128 v[17:20], v35 offset:12288
	;; [unrolled: 1-line block ×3, first 2 shown]
	s_and_saveexec_b32 s7, vcc_lo
	s_cbranch_execz .LBB0_12
; %bb.11:
	v_add3_u32 v1, 0, v38, v36
	ds_load_b128 v[9:12], v35 offset:10240
	ds_load_b128 v[25:28], v35 offset:16384
	ds_load_b128 v[1:4], v1
	ds_load_b128 v[29:32], v35 offset:22528
.LBB0_12:
	s_or_b32 exec_lo, exec_lo, s7
	v_mul_hi_u32 v39, 0x2aaaaaab, v34
	v_mul_hi_u32 v40, 0x2aaaaaab, v37
	s_delay_alu instid0(VALU_DEP_2) | instskip(NEXT) | instid1(VALU_DEP_1)
	v_mul_u32_u24_e32 v39, 6, v39
	v_sub_nc_u32_e32 v76, v34, v39
	s_delay_alu instid0(VALU_DEP_3) | instskip(NEXT) | instid1(VALU_DEP_2)
	v_mul_u32_u24_e32 v39, 6, v40
	v_mul_u32_u24_e32 v40, 3, v76
	s_delay_alu instid0(VALU_DEP_2) | instskip(NEXT) | instid1(VALU_DEP_2)
	v_sub_nc_u32_e32 v39, v37, v39
	v_lshlrev_b32_e32 v48, 4, v40
	s_delay_alu instid0(VALU_DEP_2)
	v_mul_u32_u24_e32 v44, 3, v39
	global_load_b128 v[40:43], v48, s[20:21]
	v_lshlrev_b32_e32 v60, 4, v44
	s_clause 0x4
	global_load_b128 v[44:47], v48, s[20:21] offset:16
	global_load_b128 v[48:51], v48, s[20:21] offset:32
	global_load_b128 v[52:55], v60, s[20:21]
	global_load_b128 v[56:59], v60, s[20:21] offset:16
	global_load_b128 v[60:63], v60, s[20:21] offset:32
	global_wb scope:SCOPE_SE
	s_wait_loadcnt_dscnt 0x0
	s_barrier_signal -1
	s_barrier_wait -1
	global_inv scope:SCOPE_SE
	v_mul_f64_e32 v[66:67], v[19:20], v[46:47]
	v_mul_f64_e32 v[64:65], v[23:24], v[42:43]
	;; [unrolled: 1-line block ×12, first 2 shown]
	v_fma_f64 v[17:18], v[17:18], v[44:45], -v[66:67]
	v_fma_f64 v[21:22], v[21:22], v[40:41], -v[64:65]
	v_fma_f64 v[23:24], v[23:24], v[40:41], v[42:43]
	v_fma_f64 v[19:20], v[19:20], v[44:45], v[46:47]
	v_fma_f64 v[13:14], v[13:14], v[48:49], -v[68:69]
	v_fma_f64 v[15:16], v[15:16], v[48:49], v[50:51]
	v_fma_f64 v[9:10], v[9:10], v[52:53], -v[70:71]
	;; [unrolled: 2-line block ×4, first 2 shown]
	v_fma_f64 v[31:32], v[31:32], v[60:61], v[62:63]
	v_add_f64_e64 v[40:41], v[5:6], -v[17:18]
	v_add_f64_e64 v[42:43], v[7:8], -v[19:20]
	;; [unrolled: 1-line block ×8, first 2 shown]
	v_fma_f64 v[5:6], v[5:6], 2.0, -v[40:41]
	v_fma_f64 v[7:8], v[7:8], 2.0, -v[42:43]
	;; [unrolled: 1-line block ×4, first 2 shown]
	v_add_f64_e64 v[17:18], v[40:41], -v[15:16]
	v_add_f64_e32 v[19:20], v[42:43], v[13:14]
	v_fma_f64 v[1:2], v[1:2], 2.0, -v[44:45]
	v_fma_f64 v[3:4], v[3:4], 2.0, -v[46:47]
	;; [unrolled: 1-line block ×4, first 2 shown]
	v_add_f64_e64 v[13:14], v[44:45], -v[27:28]
	v_add_f64_e32 v[15:16], v[46:47], v[25:26]
	v_add_f64_e64 v[21:22], v[5:6], -v[21:22]
	v_add_f64_e64 v[23:24], v[7:8], -v[23:24]
	v_fma_f64 v[25:26], v[40:41], 2.0, -v[17:18]
	v_fma_f64 v[27:28], v[42:43], 2.0, -v[19:20]
	v_mul_hi_u32 v40, 0x5555556, v0
	v_add_f64_e64 v[9:10], v[1:2], -v[9:10]
	v_add_f64_e64 v[11:12], v[3:4], -v[11:12]
	s_delay_alu instid0(VALU_DEP_3) | instskip(NEXT) | instid1(VALU_DEP_1)
	v_mul_u32_u24_e32 v40, 24, v40
	v_or_b32_e32 v40, v40, v76
	s_delay_alu instid0(VALU_DEP_1) | instskip(NEXT) | instid1(VALU_DEP_1)
	v_lshlrev_b32_e32 v40, 7, v40
	v_add3_u32 v40, 0, v40, v36
	v_fma_f64 v[29:30], v[5:6], 2.0, -v[21:22]
	v_fma_f64 v[31:32], v[7:8], 2.0, -v[23:24]
	;; [unrolled: 1-line block ×4, first 2 shown]
	ds_store_b128 v40, v[29:32]
	ds_store_b128 v40, v[25:28] offset:768
	ds_store_b128 v40, v[21:24] offset:1536
	;; [unrolled: 1-line block ×3, first 2 shown]
	v_fma_f64 v[1:2], v[1:2], 2.0, -v[9:10]
	v_fma_f64 v[3:4], v[3:4], 2.0, -v[11:12]
	s_and_saveexec_b32 s7, vcc_lo
	s_cbranch_execz .LBB0_14
; %bb.13:
	v_mul_lo_u16 v17, v37, 43
	s_delay_alu instid0(VALU_DEP_1) | instskip(NEXT) | instid1(VALU_DEP_1)
	v_lshrrev_b16 v17, 8, v17
	v_mul_lo_u16 v17, v17, 24
	s_delay_alu instid0(VALU_DEP_1) | instskip(NEXT) | instid1(VALU_DEP_1)
	v_and_or_b32 v17, 0xf8, v17, v39
	v_lshlrev_b32_e32 v17, 7, v17
	s_delay_alu instid0(VALU_DEP_1)
	v_add3_u32 v17, 0, v17, v36
	ds_store_b128 v17, v[1:4]
	ds_store_b128 v17, v[5:8] offset:768
	ds_store_b128 v17, v[9:12] offset:1536
	;; [unrolled: 1-line block ×3, first 2 shown]
.LBB0_14:
	s_or_b32 exec_lo, exec_lo, s7
	global_wb scope:SCOPE_SE
	s_wait_dscnt 0x0
	s_barrier_signal -1
	s_barrier_wait -1
	global_inv scope:SCOPE_SE
	ds_load_b128 v[17:20], v35
	ds_load_b128 v[29:32], v35 offset:6144
	ds_load_b128 v[25:28], v35 offset:12288
	;; [unrolled: 1-line block ×3, first 2 shown]
	v_and_b32_e32 v39, 0xf8, v0
	s_delay_alu instid0(VALU_DEP_1)
	v_lshl_add_u32 v39, v39, 4, 0
	s_and_saveexec_b32 s7, vcc_lo
	s_cbranch_execz .LBB0_16
; %bb.15:
	v_add3_u32 v1, 0, v38, v36
	s_delay_alu instid0(VALU_DEP_2)
	v_add_nc_u32_e32 v13, v39, v36
	ds_load_b128 v[1:4], v1
	ds_load_b128 v[5:8], v13 offset:10240
	ds_load_b128 v[9:12], v13 offset:16384
	;; [unrolled: 1-line block ×3, first 2 shown]
.LBB0_16:
	s_or_b32 exec_lo, exec_lo, s7
	v_mul_hi_u32 v40, 0xaaaaaab, v34
	v_mul_hi_u32 v0, 0x1555556, v0
	s_delay_alu instid0(VALU_DEP_2) | instskip(NEXT) | instid1(VALU_DEP_2)
	v_mul_u32_u24_e32 v40, 24, v40
	v_mul_u32_u24_e32 v0, 0x60, v0
	s_delay_alu instid0(VALU_DEP_2) | instskip(NEXT) | instid1(VALU_DEP_1)
	v_sub_nc_u32_e32 v58, v34, v40
	v_mul_u32_u24_e32 v40, 3, v58
	s_delay_alu instid0(VALU_DEP_3) | instskip(NEXT) | instid1(VALU_DEP_2)
	v_or_b32_e32 v0, v0, v58
	v_lshlrev_b32_e32 v48, 4, v40
	s_delay_alu instid0(VALU_DEP_2)
	v_lshlrev_b32_e32 v0, 7, v0
	s_clause 0x2
	global_load_b128 v[40:43], v48, s[20:21] offset:288
	global_load_b128 v[44:47], v48, s[20:21] offset:304
	;; [unrolled: 1-line block ×3, first 2 shown]
	v_add3_u32 v0, 0, v0, v36
	global_wb scope:SCOPE_SE
	s_wait_loadcnt_dscnt 0x0
	s_barrier_signal -1
	s_barrier_wait -1
	global_inv scope:SCOPE_SE
	v_mul_f64_e32 v[52:53], v[31:32], v[42:43]
	v_mul_f64_e32 v[42:43], v[29:30], v[42:43]
	;; [unrolled: 1-line block ×6, first 2 shown]
	v_fma_f64 v[29:30], v[29:30], v[40:41], -v[52:53]
	v_fma_f64 v[31:32], v[31:32], v[40:41], v[42:43]
	v_fma_f64 v[25:26], v[25:26], v[44:45], -v[54:55]
	v_fma_f64 v[27:28], v[27:28], v[44:45], v[46:47]
	;; [unrolled: 2-line block ×3, first 2 shown]
	s_delay_alu instid0(VALU_DEP_4) | instskip(NEXT) | instid1(VALU_DEP_4)
	v_add_f64_e64 v[25:26], v[17:18], -v[25:26]
	v_add_f64_e64 v[27:28], v[19:20], -v[27:28]
	s_delay_alu instid0(VALU_DEP_4) | instskip(NEXT) | instid1(VALU_DEP_4)
	v_add_f64_e64 v[40:41], v[29:30], -v[21:22]
	v_add_f64_e64 v[21:22], v[31:32], -v[23:24]
	s_delay_alu instid0(VALU_DEP_4) | instskip(NEXT) | instid1(VALU_DEP_4)
	v_fma_f64 v[42:43], v[17:18], 2.0, -v[25:26]
	v_fma_f64 v[44:45], v[19:20], 2.0, -v[27:28]
	s_delay_alu instid0(VALU_DEP_4) | instskip(NEXT) | instid1(VALU_DEP_4)
	v_fma_f64 v[19:20], v[29:30], 2.0, -v[40:41]
	v_fma_f64 v[23:24], v[31:32], 2.0, -v[21:22]
	v_add_f64_e64 v[17:18], v[25:26], -v[21:22]
	s_delay_alu instid0(VALU_DEP_3) | instskip(NEXT) | instid1(VALU_DEP_3)
	v_add_f64_e64 v[21:22], v[42:43], -v[19:20]
	v_add_f64_e64 v[23:24], v[44:45], -v[23:24]
	v_add_f64_e32 v[19:20], v[27:28], v[40:41]
	s_delay_alu instid0(VALU_DEP_4) | instskip(NEXT) | instid1(VALU_DEP_4)
	v_fma_f64 v[25:26], v[25:26], 2.0, -v[17:18]
	v_fma_f64 v[29:30], v[42:43], 2.0, -v[21:22]
	s_delay_alu instid0(VALU_DEP_4) | instskip(NEXT) | instid1(VALU_DEP_4)
	v_fma_f64 v[31:32], v[44:45], 2.0, -v[23:24]
	v_fma_f64 v[27:28], v[27:28], 2.0, -v[19:20]
	ds_store_b128 v0, v[29:32]
	ds_store_b128 v0, v[25:28] offset:3072
	ds_store_b128 v0, v[21:24] offset:6144
	;; [unrolled: 1-line block ×3, first 2 shown]
	s_and_saveexec_b32 s7, vcc_lo
	s_cbranch_execz .LBB0_18
; %bb.17:
	v_mul_hi_u32 v0, 0xaaaaaab, v37
	s_delay_alu instid0(VALU_DEP_1) | instskip(NEXT) | instid1(VALU_DEP_1)
	v_mul_u32_u24_e32 v0, 24, v0
	v_sub_nc_u32_e32 v42, v37, v0
	s_delay_alu instid0(VALU_DEP_1) | instskip(NEXT) | instid1(VALU_DEP_1)
	v_mul_u32_u24_e32 v0, 3, v42
	v_lshlrev_b32_e32 v0, 4, v0
	s_clause 0x2
	global_load_b128 v[17:20], v0, s[20:21] offset:304
	global_load_b128 v[21:24], v0, s[20:21] offset:288
	;; [unrolled: 1-line block ×3, first 2 shown]
	s_wait_loadcnt 0x2
	v_mul_f64_e32 v[29:30], v[9:10], v[19:20]
	s_wait_loadcnt 0x1
	v_mul_f64_e32 v[31:32], v[7:8], v[23:24]
	v_mul_f64_e32 v[23:24], v[5:6], v[23:24]
	s_wait_loadcnt 0x0
	v_mul_f64_e32 v[40:41], v[13:14], v[27:28]
	v_mul_f64_e32 v[19:20], v[11:12], v[19:20]
	;; [unrolled: 1-line block ×3, first 2 shown]
	v_fma_f64 v[11:12], v[11:12], v[17:18], v[29:30]
	v_fma_f64 v[5:6], v[5:6], v[21:22], -v[31:32]
	v_fma_f64 v[7:8], v[7:8], v[21:22], v[23:24]
	v_fma_f64 v[15:16], v[15:16], v[25:26], v[40:41]
	v_fma_f64 v[9:10], v[9:10], v[17:18], -v[19:20]
	v_fma_f64 v[13:14], v[13:14], v[25:26], -v[27:28]
	v_add_f64_e64 v[11:12], v[3:4], -v[11:12]
	s_delay_alu instid0(VALU_DEP_4) | instskip(NEXT) | instid1(VALU_DEP_4)
	v_add_f64_e64 v[15:16], v[7:8], -v[15:16]
	v_add_f64_e64 v[17:18], v[1:2], -v[9:10]
	s_delay_alu instid0(VALU_DEP_4) | instskip(NEXT) | instid1(VALU_DEP_4)
	v_add_f64_e64 v[9:10], v[5:6], -v[13:14]
	v_fma_f64 v[13:14], v[3:4], 2.0, -v[11:12]
	s_delay_alu instid0(VALU_DEP_4) | instskip(NEXT) | instid1(VALU_DEP_4)
	v_fma_f64 v[7:8], v[7:8], 2.0, -v[15:16]
	v_fma_f64 v[19:20], v[1:2], 2.0, -v[17:18]
	s_delay_alu instid0(VALU_DEP_4) | instskip(SKIP_1) | instid1(VALU_DEP_4)
	v_fma_f64 v[0:1], v[5:6], 2.0, -v[9:10]
	v_add_f64_e32 v[2:3], v[11:12], v[9:10]
	v_add_f64_e64 v[6:7], v[13:14], -v[7:8]
	s_delay_alu instid0(VALU_DEP_3) | instskip(SKIP_1) | instid1(VALU_DEP_4)
	v_add_f64_e64 v[4:5], v[19:20], -v[0:1]
	v_add_f64_e64 v[0:1], v[17:18], -v[15:16]
	v_fma_f64 v[10:11], v[11:12], 2.0, -v[2:3]
	v_lshlrev_b32_e32 v16, 7, v42
	s_delay_alu instid0(VALU_DEP_1)
	v_add3_u32 v16, 0, v16, v36
	v_fma_f64 v[14:15], v[13:14], 2.0, -v[6:7]
	v_fma_f64 v[12:13], v[19:20], 2.0, -v[4:5]
	;; [unrolled: 1-line block ×3, first 2 shown]
	ds_store_b128 v16, v[12:15] offset:12288
	ds_store_b128 v16, v[8:11] offset:15360
	ds_store_b128 v16, v[4:7] offset:18432
	ds_store_b128 v16, v[0:3] offset:21504
.LBB0_18:
	s_or_b32 exec_lo, exec_lo, s7
	v_or_b32_e32 v0, s14, v33
	global_wb scope:SCOPE_SE
	s_wait_dscnt 0x0
	s_barrier_signal -1
	s_barrier_wait -1
	global_inv scope:SCOPE_SE
	v_cmp_gt_u32_e32 vcc_lo, s10, v0
	s_or_b32 s3, s3, vcc_lo
	s_wait_alu 0xfffe
	s_and_saveexec_b32 s7, s3
	s_cbranch_execz .LBB0_20
; %bb.19:
	v_or_b32_e32 v40, 64, v34
	v_lshlrev_b32_e32 v0, 4, v37
	v_lshlrev_b32_e32 v4, 4, v34
	v_add_nc_u32_e32 v20, v39, v36
	s_load_b64 s[0:1], s[0:1], 0x60
	v_lshlrev_b32_e32 v8, 4, v40
	s_mul_i32 s7, s6, 0x60
	s_mov_b32 s3, 0
	s_clause 0x2
	global_load_b128 v[0:3], v0, s[20:21] offset:1440
	global_load_b128 v[4:7], v4, s[20:21] offset:1440
	;; [unrolled: 1-line block ×3, first 2 shown]
	ds_load_b128 v[12:15], v20 offset:16384
	ds_load_b128 v[16:19], v35 offset:12288
	;; [unrolled: 1-line block ×3, first 2 shown]
	s_wait_alu 0xfffe
	s_mov_b32 s15, s3
	s_mul_i32 s2, s2, s18
	s_mul_u64 s[8:9], s[8:9], s[16:17]
	s_wait_alu 0xfffe
	s_lshl_b64 s[2:3], s[2:3], 4
	s_wait_loadcnt_dscnt 0x202
	v_mul_f64_e32 v[24:25], v[12:13], v[2:3]
	s_wait_loadcnt_dscnt 0x101
	v_mul_f64_e32 v[26:27], v[16:17], v[6:7]
	v_mul_f64_e32 v[6:7], v[18:19], v[6:7]
	;; [unrolled: 1-line block ×3, first 2 shown]
	s_wait_loadcnt_dscnt 0x0
	v_mul_f64_e32 v[28:29], v[20:21], v[10:11]
	v_mul_f64_e32 v[10:11], v[22:23], v[10:11]
	v_fma_f64 v[14:15], v[14:15], v[0:1], v[24:25]
	v_fma_f64 v[18:19], v[18:19], v[4:5], v[26:27]
	v_fma_f64 v[16:17], v[16:17], v[4:5], -v[6:7]
	v_fma_f64 v[12:13], v[12:13], v[0:1], -v[2:3]
	v_fma_f64 v[22:23], v[22:23], v[8:9], v[28:29]
	v_fma_f64 v[20:21], v[20:21], v[8:9], -v[10:11]
	v_lshlrev_b32_e32 v0, 7, v40
	v_add3_u32 v1, 0, v38, v36
	v_mul_lo_u32 v26, v34, s6
	v_mov_b32_e32 v27, 0
	v_mad_co_u64_u32 v[24:25], null, s4, v33, 0
	v_add3_u32 v8, 0, v0, v36
	ds_load_b128 v[0:3], v1
	ds_load_b128 v[4:7], v35
	;; [unrolled: 1-line block ×3, first 2 shown]
	v_lshlrev_b64_e32 v[28:29], 4, v[26:27]
	v_add_nc_u32_e32 v26, s7, v26
	s_delay_alu instid0(VALU_DEP_1)
	v_mad_co_u64_u32 v[30:31], null, s5, v33, v[25:26]
	v_lshlrev_b64_e32 v[31:32], 4, v[26:27]
	v_mul_lo_u32 v26, v37, s6
	s_mul_u64 s[4:5], s[4:5], s[14:15]
	s_wait_alu 0xfffe
	s_lshl_b64 s[4:5], s[4:5], 4
	s_delay_alu instid0(VALU_DEP_3)
	v_mov_b32_e32 v25, v30
	s_wait_kmcnt 0x0
	s_wait_alu 0xfffe
	s_add_nc_u64 s[0:1], s[0:1], s[4:5]
	s_lshl_b64 s[4:5], s[8:9], 4
	v_lshlrev_b64_e32 v[33:34], 4, v[26:27]
	v_add_nc_u32_e32 v26, s7, v26
	v_lshlrev_b64_e32 v[24:25], 4, v[24:25]
	s_add_nc_u64 s[0:1], s[0:1], s[2:3]
	s_wait_alu 0xfffe
	s_add_nc_u64 s[0:1], s[0:1], s[4:5]
	s_wait_dscnt 0x1
	v_add_f64_e64 v[18:19], v[6:7], -v[18:19]
	v_add_f64_e64 v[16:17], v[4:5], -v[16:17]
	;; [unrolled: 1-line block ×4, first 2 shown]
	s_wait_dscnt 0x0
	v_add_f64_e64 v[22:23], v[10:11], -v[22:23]
	v_add_f64_e64 v[20:21], v[8:9], -v[20:21]
	v_add_co_u32 v37, vcc_lo, s0, v24
	v_lshlrev_b64_e32 v[35:36], 4, v[26:27]
	v_mul_lo_u32 v26, v40, s6
	s_wait_alu 0xfffd
	v_add_co_ci_u32_e32 v38, vcc_lo, s1, v25, vcc_lo
	v_add_co_u32 v28, vcc_lo, v37, v28
	s_wait_alu 0xfffd
	s_delay_alu instid0(VALU_DEP_2)
	v_add_co_ci_u32_e32 v29, vcc_lo, v38, v29, vcc_lo
	v_add_co_u32 v30, vcc_lo, v37, v31
	v_lshlrev_b64_e32 v[24:25], 4, v[26:27]
	v_add_nc_u32_e32 v26, s7, v26
	s_wait_alu 0xfffd
	v_add_co_ci_u32_e32 v31, vcc_lo, v38, v32, vcc_lo
	v_add_co_u32 v32, vcc_lo, v37, v33
	s_wait_alu 0xfffd
	v_add_co_ci_u32_e32 v33, vcc_lo, v38, v34, vcc_lo
	v_add_co_u32 v34, vcc_lo, v37, v35
	v_lshlrev_b64_e32 v[26:27], 4, v[26:27]
	s_wait_alu 0xfffd
	v_add_co_ci_u32_e32 v35, vcc_lo, v38, v36, vcc_lo
	v_add_co_u32 v24, vcc_lo, v37, v24
	s_wait_alu 0xfffd
	v_add_co_ci_u32_e32 v25, vcc_lo, v38, v25, vcc_lo
	v_add_co_u32 v26, vcc_lo, v37, v26
	v_fma_f64 v[6:7], v[6:7], 2.0, -v[18:19]
	v_fma_f64 v[4:5], v[4:5], 2.0, -v[16:17]
	;; [unrolled: 1-line block ×6, first 2 shown]
	s_wait_alu 0xfffd
	v_add_co_ci_u32_e32 v27, vcc_lo, v38, v27, vcc_lo
	s_clause 0x5
	global_store_b128 v[28:29], v[4:7], off
	global_store_b128 v[30:31], v[16:19], off
	;; [unrolled: 1-line block ×6, first 2 shown]
.LBB0_20:
	s_nop 0
	s_sendmsg sendmsg(MSG_DEALLOC_VGPRS)
	s_endpgm
	.section	.rodata,"a",@progbits
	.p2align	6, 0x0
	.amdhsa_kernel fft_rtc_fwd_len192_factors_6_4_4_2_wgs_256_tpt_32_dp_op_CI_CI_sbrc_xy_z_unaligned_dirReg
		.amdhsa_group_segment_fixed_size 0
		.amdhsa_private_segment_fixed_size 0
		.amdhsa_kernarg_size 104
		.amdhsa_user_sgpr_count 2
		.amdhsa_user_sgpr_dispatch_ptr 0
		.amdhsa_user_sgpr_queue_ptr 0
		.amdhsa_user_sgpr_kernarg_segment_ptr 1
		.amdhsa_user_sgpr_dispatch_id 0
		.amdhsa_user_sgpr_private_segment_size 0
		.amdhsa_wavefront_size32 1
		.amdhsa_uses_dynamic_stack 0
		.amdhsa_enable_private_segment 0
		.amdhsa_system_sgpr_workgroup_id_x 1
		.amdhsa_system_sgpr_workgroup_id_y 0
		.amdhsa_system_sgpr_workgroup_id_z 0
		.amdhsa_system_sgpr_workgroup_info 0
		.amdhsa_system_vgpr_workitem_id 0
		.amdhsa_next_free_vgpr 77
		.amdhsa_next_free_sgpr 28
		.amdhsa_reserve_vcc 1
		.amdhsa_float_round_mode_32 0
		.amdhsa_float_round_mode_16_64 0
		.amdhsa_float_denorm_mode_32 3
		.amdhsa_float_denorm_mode_16_64 3
		.amdhsa_fp16_overflow 0
		.amdhsa_workgroup_processor_mode 1
		.amdhsa_memory_ordered 1
		.amdhsa_forward_progress 0
		.amdhsa_round_robin_scheduling 0
		.amdhsa_exception_fp_ieee_invalid_op 0
		.amdhsa_exception_fp_denorm_src 0
		.amdhsa_exception_fp_ieee_div_zero 0
		.amdhsa_exception_fp_ieee_overflow 0
		.amdhsa_exception_fp_ieee_underflow 0
		.amdhsa_exception_fp_ieee_inexact 0
		.amdhsa_exception_int_div_zero 0
	.end_amdhsa_kernel
	.text
.Lfunc_end0:
	.size	fft_rtc_fwd_len192_factors_6_4_4_2_wgs_256_tpt_32_dp_op_CI_CI_sbrc_xy_z_unaligned_dirReg, .Lfunc_end0-fft_rtc_fwd_len192_factors_6_4_4_2_wgs_256_tpt_32_dp_op_CI_CI_sbrc_xy_z_unaligned_dirReg
                                        ; -- End function
	.section	.AMDGPU.csdata,"",@progbits
; Kernel info:
; codeLenInByte = 5172
; NumSgprs: 30
; NumVgprs: 77
; ScratchSize: 0
; MemoryBound: 0
; FloatMode: 240
; IeeeMode: 1
; LDSByteSize: 0 bytes/workgroup (compile time only)
; SGPRBlocks: 3
; VGPRBlocks: 9
; NumSGPRsForWavesPerEU: 30
; NumVGPRsForWavesPerEU: 77
; Occupancy: 16
; WaveLimiterHint : 1
; COMPUTE_PGM_RSRC2:SCRATCH_EN: 0
; COMPUTE_PGM_RSRC2:USER_SGPR: 2
; COMPUTE_PGM_RSRC2:TRAP_HANDLER: 0
; COMPUTE_PGM_RSRC2:TGID_X_EN: 1
; COMPUTE_PGM_RSRC2:TGID_Y_EN: 0
; COMPUTE_PGM_RSRC2:TGID_Z_EN: 0
; COMPUTE_PGM_RSRC2:TIDIG_COMP_CNT: 0
	.text
	.p2alignl 7, 3214868480
	.fill 96, 4, 3214868480
	.type	__hip_cuid_8bde8ebea9c00daf,@object ; @__hip_cuid_8bde8ebea9c00daf
	.section	.bss,"aw",@nobits
	.globl	__hip_cuid_8bde8ebea9c00daf
__hip_cuid_8bde8ebea9c00daf:
	.byte	0                               ; 0x0
	.size	__hip_cuid_8bde8ebea9c00daf, 1

	.ident	"AMD clang version 19.0.0git (https://github.com/RadeonOpenCompute/llvm-project roc-6.4.0 25133 c7fe45cf4b819c5991fe208aaa96edf142730f1d)"
	.section	".note.GNU-stack","",@progbits
	.addrsig
	.addrsig_sym __hip_cuid_8bde8ebea9c00daf
	.amdgpu_metadata
---
amdhsa.kernels:
  - .args:
      - .actual_access:  read_only
        .address_space:  global
        .offset:         0
        .size:           8
        .value_kind:     global_buffer
      - .offset:         8
        .size:           8
        .value_kind:     by_value
      - .actual_access:  read_only
        .address_space:  global
        .offset:         16
        .size:           8
        .value_kind:     global_buffer
      - .actual_access:  read_only
        .address_space:  global
        .offset:         24
        .size:           8
        .value_kind:     global_buffer
      - .actual_access:  read_only
        .address_space:  global
        .offset:         32
        .size:           8
        .value_kind:     global_buffer
      - .offset:         40
        .size:           8
        .value_kind:     by_value
      - .actual_access:  read_only
        .address_space:  global
        .offset:         48
        .size:           8
        .value_kind:     global_buffer
      - .actual_access:  read_only
        .address_space:  global
        .offset:         56
        .size:           8
        .value_kind:     global_buffer
      - .offset:         64
        .size:           4
        .value_kind:     by_value
      - .actual_access:  read_only
        .address_space:  global
        .offset:         72
        .size:           8
        .value_kind:     global_buffer
      - .actual_access:  read_only
        .address_space:  global
        .offset:         80
        .size:           8
        .value_kind:     global_buffer
      - .actual_access:  read_only
        .address_space:  global
        .offset:         88
        .size:           8
        .value_kind:     global_buffer
      - .actual_access:  write_only
        .address_space:  global
        .offset:         96
        .size:           8
        .value_kind:     global_buffer
    .group_segment_fixed_size: 0
    .kernarg_segment_align: 8
    .kernarg_segment_size: 104
    .language:       OpenCL C
    .language_version:
      - 2
      - 0
    .max_flat_workgroup_size: 256
    .name:           fft_rtc_fwd_len192_factors_6_4_4_2_wgs_256_tpt_32_dp_op_CI_CI_sbrc_xy_z_unaligned_dirReg
    .private_segment_fixed_size: 0
    .sgpr_count:     30
    .sgpr_spill_count: 0
    .symbol:         fft_rtc_fwd_len192_factors_6_4_4_2_wgs_256_tpt_32_dp_op_CI_CI_sbrc_xy_z_unaligned_dirReg.kd
    .uniform_work_group_size: 1
    .uses_dynamic_stack: false
    .vgpr_count:     77
    .vgpr_spill_count: 0
    .wavefront_size: 32
    .workgroup_processor_mode: 1
amdhsa.target:   amdgcn-amd-amdhsa--gfx1201
amdhsa.version:
  - 1
  - 2
...

	.end_amdgpu_metadata
